;; amdgpu-corpus repo=ROCm/rocFFT kind=compiled arch=gfx950 opt=O3
	.text
	.amdgcn_target "amdgcn-amd-amdhsa--gfx950"
	.amdhsa_code_object_version 6
	.protected	fft_rtc_back_len780_factors_2_3_13_5_2_wgs_234_tpt_78_halfLds_dp_op_CI_CI_unitstride_sbrr_dirReg ; -- Begin function fft_rtc_back_len780_factors_2_3_13_5_2_wgs_234_tpt_78_halfLds_dp_op_CI_CI_unitstride_sbrr_dirReg
	.globl	fft_rtc_back_len780_factors_2_3_13_5_2_wgs_234_tpt_78_halfLds_dp_op_CI_CI_unitstride_sbrr_dirReg
	.p2align	8
	.type	fft_rtc_back_len780_factors_2_3_13_5_2_wgs_234_tpt_78_halfLds_dp_op_CI_CI_unitstride_sbrr_dirReg,@function
fft_rtc_back_len780_factors_2_3_13_5_2_wgs_234_tpt_78_halfLds_dp_op_CI_CI_unitstride_sbrr_dirReg: ; @fft_rtc_back_len780_factors_2_3_13_5_2_wgs_234_tpt_78_halfLds_dp_op_CI_CI_unitstride_sbrr_dirReg
; %bb.0:
	s_load_dwordx4 s[4:7], s[0:1], 0x58
	s_load_dwordx4 s[8:11], s[0:1], 0x0
	;; [unrolled: 1-line block ×3, first 2 shown]
	v_mul_u32_u24_e32 v1, 0x349, v0
	v_lshrrev_b32_e32 v2, 16, v1
	v_mad_u64_u32 v[2:3], s[2:3], s2, 3, v[2:3]
	v_mov_b32_e32 v6, 0
	v_mov_b32_e32 v3, v6
	s_waitcnt lgkmcnt(0)
	v_cmp_lt_u64_e64 s[2:3], s[10:11], 2
	v_mov_b64_e32 v[4:5], 0
	s_and_b64 vcc, exec, s[2:3]
	v_mov_b64_e32 v[58:59], v[4:5]
	v_mov_b64_e32 v[62:63], v[2:3]
	s_cbranch_vccnz .LBB0_8
; %bb.1:
	s_load_dwordx2 s[2:3], s[0:1], 0x10
	s_add_u32 s16, s14, 8
	s_addc_u32 s17, s15, 0
	s_add_u32 s18, s12, 8
	s_addc_u32 s19, s13, 0
	s_waitcnt lgkmcnt(0)
	s_add_u32 s20, s2, 8
	v_mov_b64_e32 v[4:5], 0
	s_addc_u32 s21, s3, 0
	s_mov_b64 s[22:23], 1
	v_mov_b64_e32 v[58:59], v[4:5]
	v_mov_b64_e32 v[8:9], v[2:3]
.LBB0_2:                                ; =>This Inner Loop Header: Depth=1
	s_load_dwordx2 s[24:25], s[20:21], 0x0
                                        ; implicit-def: $vgpr62_vgpr63
	s_waitcnt lgkmcnt(0)
	v_or_b32_e32 v7, s25, v9
	v_cmp_ne_u64_e32 vcc, 0, v[6:7]
	s_and_saveexec_b64 s[2:3], vcc
	s_xor_b64 s[26:27], exec, s[2:3]
	s_cbranch_execz .LBB0_4
; %bb.3:                                ;   in Loop: Header=BB0_2 Depth=1
	v_cvt_f32_u32_e32 v1, s24
	v_cvt_f32_u32_e32 v3, s25
	s_sub_u32 s2, 0, s24
	s_subb_u32 s3, 0, s25
	v_fmac_f32_e32 v1, 0x4f800000, v3
	v_rcp_f32_e32 v1, v1
	s_nop 0
	v_mul_f32_e32 v1, 0x5f7ffffc, v1
	v_mul_f32_e32 v3, 0x2f800000, v1
	v_trunc_f32_e32 v3, v3
	v_fmac_f32_e32 v1, 0xcf800000, v3
	v_cvt_u32_f32_e32 v3, v3
	v_cvt_u32_f32_e32 v1, v1
	v_mul_lo_u32 v7, s2, v3
	v_mul_hi_u32 v10, s2, v1
	v_mul_lo_u32 v11, s3, v1
	v_add_u32_e32 v7, v10, v7
	v_mul_lo_u32 v14, s2, v1
	v_add_u32_e32 v7, v7, v11
	v_mul_hi_u32 v10, v1, v14
	v_mul_hi_u32 v13, v1, v7
	v_mul_lo_u32 v12, v1, v7
	v_mov_b32_e32 v11, v6
	v_lshl_add_u64 v[10:11], v[10:11], 0, v[12:13]
	v_mul_hi_u32 v13, v3, v14
	v_mul_lo_u32 v14, v3, v14
	v_add_co_u32_e32 v10, vcc, v10, v14
	v_mul_hi_u32 v12, v3, v7
	s_nop 0
	v_addc_co_u32_e32 v10, vcc, v11, v13, vcc
	v_mov_b32_e32 v11, v6
	s_nop 0
	v_addc_co_u32_e32 v13, vcc, 0, v12, vcc
	v_mul_lo_u32 v12, v3, v7
	v_lshl_add_u64 v[10:11], v[10:11], 0, v[12:13]
	v_add_co_u32_e32 v1, vcc, v1, v10
	v_mul_hi_u32 v10, s2, v1
	s_nop 0
	v_addc_co_u32_e32 v3, vcc, v3, v11, vcc
	v_mul_lo_u32 v7, s2, v3
	v_add_u32_e32 v7, v10, v7
	v_mul_lo_u32 v10, s3, v1
	v_add_u32_e32 v7, v7, v10
	v_mul_lo_u32 v12, s2, v1
	v_mul_hi_u32 v15, v3, v12
	v_mul_lo_u32 v16, v3, v12
	v_mul_hi_u32 v11, v1, v7
	;; [unrolled: 2-line block ×3, first 2 shown]
	v_mov_b32_e32 v13, v6
	v_lshl_add_u64 v[10:11], v[12:13], 0, v[10:11]
	v_add_co_u32_e32 v10, vcc, v10, v16
	v_mul_hi_u32 v14, v3, v7
	s_nop 0
	v_addc_co_u32_e32 v10, vcc, v11, v15, vcc
	v_mul_lo_u32 v12, v3, v7
	s_nop 0
	v_addc_co_u32_e32 v13, vcc, 0, v14, vcc
	v_mov_b32_e32 v11, v6
	v_lshl_add_u64 v[10:11], v[10:11], 0, v[12:13]
	v_add_co_u32_e32 v1, vcc, v1, v10
	v_mul_hi_u32 v12, v8, v1
	s_nop 0
	v_addc_co_u32_e32 v3, vcc, v3, v11, vcc
	v_mad_u64_u32 v[10:11], s[2:3], v8, v3, 0
	v_mov_b32_e32 v13, v6
	v_lshl_add_u64 v[10:11], v[12:13], 0, v[10:11]
	v_mad_u64_u32 v[14:15], s[2:3], v9, v1, 0
	v_add_co_u32_e32 v1, vcc, v10, v14
	v_mad_u64_u32 v[12:13], s[2:3], v9, v3, 0
	s_nop 0
	v_addc_co_u32_e32 v10, vcc, v11, v15, vcc
	v_mov_b32_e32 v11, v6
	s_nop 0
	v_addc_co_u32_e32 v13, vcc, 0, v13, vcc
	v_lshl_add_u64 v[10:11], v[10:11], 0, v[12:13]
	v_mul_lo_u32 v1, s25, v10
	v_mul_lo_u32 v3, s24, v11
	v_mad_u64_u32 v[12:13], s[2:3], s24, v10, 0
	v_add3_u32 v1, v13, v3, v1
	v_sub_u32_e32 v3, v9, v1
	v_mov_b32_e32 v7, s25
	v_sub_co_u32_e32 v16, vcc, v8, v12
	v_lshl_add_u64 v[14:15], v[10:11], 0, 1
	s_nop 0
	v_subb_co_u32_e64 v3, s[2:3], v3, v7, vcc
	v_subrev_co_u32_e64 v7, s[2:3], s24, v16
	v_subb_co_u32_e32 v1, vcc, v9, v1, vcc
	s_nop 0
	v_subbrev_co_u32_e64 v3, s[2:3], 0, v3, s[2:3]
	v_cmp_le_u32_e64 s[2:3], s25, v3
	v_cmp_le_u32_e32 vcc, s25, v1
	s_nop 0
	v_cndmask_b32_e64 v12, 0, -1, s[2:3]
	v_cmp_le_u32_e64 s[2:3], s24, v7
	s_nop 1
	v_cndmask_b32_e64 v7, 0, -1, s[2:3]
	v_cmp_eq_u32_e64 s[2:3], s25, v3
	s_nop 1
	v_cndmask_b32_e64 v3, v12, v7, s[2:3]
	v_lshl_add_u64 v[12:13], v[10:11], 0, 2
	v_cmp_ne_u32_e64 s[2:3], 0, v3
	v_cndmask_b32_e64 v7, 0, -1, vcc
	v_cmp_le_u32_e32 vcc, s24, v16
	v_cndmask_b32_e64 v3, v15, v13, s[2:3]
	s_nop 0
	v_cndmask_b32_e64 v13, 0, -1, vcc
	v_cmp_eq_u32_e32 vcc, s25, v1
	s_nop 1
	v_cndmask_b32_e32 v1, v7, v13, vcc
	v_cmp_ne_u32_e32 vcc, 0, v1
	v_cndmask_b32_e64 v1, v14, v12, s[2:3]
	s_nop 0
	v_cndmask_b32_e32 v63, v11, v3, vcc
	v_cndmask_b32_e32 v62, v10, v1, vcc
.LBB0_4:                                ;   in Loop: Header=BB0_2 Depth=1
	s_andn2_saveexec_b64 s[2:3], s[26:27]
	s_cbranch_execz .LBB0_6
; %bb.5:                                ;   in Loop: Header=BB0_2 Depth=1
	v_cvt_f32_u32_e32 v1, s24
	s_sub_i32 s26, 0, s24
	v_mov_b32_e32 v63, v6
	v_rcp_iflag_f32_e32 v1, v1
	s_nop 0
	v_mul_f32_e32 v1, 0x4f7ffffe, v1
	v_cvt_u32_f32_e32 v1, v1
	v_mul_lo_u32 v3, s26, v1
	v_mul_hi_u32 v3, v1, v3
	v_add_u32_e32 v1, v1, v3
	v_mul_hi_u32 v1, v8, v1
	v_mul_lo_u32 v3, v1, s24
	v_sub_u32_e32 v3, v8, v3
	v_add_u32_e32 v7, 1, v1
	v_subrev_u32_e32 v10, s24, v3
	v_cmp_le_u32_e32 vcc, s24, v3
	s_nop 1
	v_cndmask_b32_e32 v3, v3, v10, vcc
	v_cndmask_b32_e32 v1, v1, v7, vcc
	v_add_u32_e32 v7, 1, v1
	v_cmp_le_u32_e32 vcc, s24, v3
	s_nop 1
	v_cndmask_b32_e32 v62, v1, v7, vcc
.LBB0_6:                                ;   in Loop: Header=BB0_2 Depth=1
	s_or_b64 exec, exec, s[2:3]
	v_mad_u64_u32 v[10:11], s[2:3], v62, s24, 0
	s_load_dwordx2 s[2:3], s[18:19], 0x0
	s_add_u32 s22, s22, 1
	v_mul_lo_u32 v1, v63, s24
	v_mul_lo_u32 v3, v62, s25
	s_load_dwordx2 s[24:25], s[16:17], 0x0
	s_addc_u32 s23, s23, 0
	v_add3_u32 v1, v11, v3, v1
	v_sub_co_u32_e32 v3, vcc, v8, v10
	s_add_u32 s16, s16, 8
	s_nop 0
	v_subb_co_u32_e32 v1, vcc, v9, v1, vcc
	s_addc_u32 s17, s17, 0
	s_waitcnt lgkmcnt(0)
	v_mul_lo_u32 v7, s2, v1
	v_mul_lo_u32 v8, s3, v3
	v_mad_u64_u32 v[4:5], s[2:3], s2, v3, v[4:5]
	s_add_u32 s18, s18, 8
	v_add3_u32 v5, v8, v5, v7
	s_addc_u32 s19, s19, 0
	v_mov_b64_e32 v[8:9], s[10:11]
	v_mul_lo_u32 v1, s24, v1
	v_mul_lo_u32 v7, s25, v3
	v_mad_u64_u32 v[58:59], s[2:3], s24, v3, v[58:59]
	s_add_u32 s20, s20, 8
	v_cmp_ge_u64_e32 vcc, s[22:23], v[8:9]
	v_add3_u32 v59, v7, v59, v1
	s_addc_u32 s21, s21, 0
	s_cbranch_vccnz .LBB0_8
; %bb.7:                                ;   in Loop: Header=BB0_2 Depth=1
	v_mov_b64_e32 v[8:9], v[62:63]
	s_branch .LBB0_2
.LBB0_8:
	s_load_dwordx2 s[0:1], s[0:1], 0x28
	s_lshl_b64 s[16:17], s[10:11], 3
	s_add_u32 s2, s14, s16
	s_addc_u32 s3, s15, s17
                                        ; implicit-def: $vgpr60
	s_waitcnt lgkmcnt(0)
	v_cmp_gt_u64_e32 vcc, s[0:1], v[62:63]
	v_cmp_le_u64_e64 s[0:1], s[0:1], v[62:63]
	s_and_saveexec_b64 s[10:11], s[0:1]
	s_xor_b64 s[0:1], exec, s[10:11]
; %bb.9:
	s_mov_b32 s10, 0x3483484
	v_mul_hi_u32 v1, v0, s10
	v_mul_u32_u24_e32 v1, 0x4e, v1
	v_sub_u32_e32 v60, v0, v1
                                        ; implicit-def: $vgpr0
                                        ; implicit-def: $vgpr4_vgpr5
; %bb.10:
	s_or_saveexec_b64 s[10:11], s[0:1]
                                        ; implicit-def: $vgpr56_vgpr57
                                        ; implicit-def: $vgpr44_vgpr45
                                        ; implicit-def: $vgpr48_vgpr49
                                        ; implicit-def: $vgpr36_vgpr37
                                        ; implicit-def: $vgpr20_vgpr21
                                        ; implicit-def: $vgpr16_vgpr17
                                        ; implicit-def: $vgpr40_vgpr41
                                        ; implicit-def: $vgpr12_vgpr13
                                        ; implicit-def: $vgpr52_vgpr53
                                        ; implicit-def: $vgpr8_vgpr9
	s_xor_b64 exec, exec, s[10:11]
	s_cbranch_execz .LBB0_12
; %bb.11:
	s_add_u32 s0, s12, s16
	s_addc_u32 s1, s13, s17
	s_load_dwordx2 s[0:1], s[0:1], 0x0
	s_mov_b32 s12, 0x3483484
	s_waitcnt lgkmcnt(0)
	v_mul_lo_u32 v1, s1, v62
	v_mul_lo_u32 v3, s0, v63
	v_mad_u64_u32 v[6:7], s[0:1], s0, v62, 0
	v_add3_u32 v7, v7, v3, v1
	v_mul_hi_u32 v1, v0, s12
	v_mul_u32_u24_e32 v1, 0x4e, v1
	v_sub_u32_e32 v60, v0, v1
	v_lshl_add_u64 v[0:1], v[6:7], 4, s[4:5]
	v_lshl_add_u64 v[0:1], v[4:5], 4, v[0:1]
	v_lshlrev_b32_e32 v4, 4, v60
	v_mov_b32_e32 v5, 0
	v_lshl_add_u64 v[0:1], v[0:1], 0, v[4:5]
	s_movk_i32 s0, 0x1000
	v_add_co_u32_e64 v4, s[0:1], s0, v0
	global_load_dwordx4 v[6:9], v[0:1], off
	global_load_dwordx4 v[10:13], v[0:1], off offset:1248
	v_addc_co_u32_e64 v5, s[0:1], 0, v1, s[0:1]
	s_movk_i32 s0, 0x2000
	s_nop 0
	v_add_co_u32_e64 v22, s[0:1], s0, v0
	s_nop 1
	v_addc_co_u32_e64 v23, s[0:1], 0, v1, s[0:1]
	global_load_dwordx4 v[38:41], v[4:5], off offset:3392
	global_load_dwordx4 v[18:21], v[22:23], off offset:544
	global_load_dwordx4 v[14:17], v[0:1], off offset:2496
	global_load_dwordx4 v[34:37], v[0:1], off offset:3744
	global_load_dwordx4 v[50:53], v[4:5], off offset:2144
	global_load_dwordx4 v[42:45], v[4:5], off offset:896
	global_load_dwordx4 v[46:49], v[22:23], off offset:1792
	global_load_dwordx4 v[54:57], v[22:23], off offset:3040
.LBB0_12:
	s_or_b64 exec, exec, s[10:11]
	s_mov_b32 s0, 0xaaaaaaab
	v_mul_hi_u32 v0, v2, s0
	v_lshrrev_b32_e32 v0, 1, v0
	v_lshl_add_u32 v0, v0, 1, v0
	v_sub_u32_e32 v0, v2, v0
	v_mul_u32_u24_e32 v22, 0x30c, v0
	s_waitcnt vmcnt(3)
	v_add_f64 v[2:3], v[6:7], -v[50:51]
	v_fma_f64 v[0:1], v[6:7], 2.0, -v[2:3]
	v_add_f64 v[6:7], v[10:11], -v[38:39]
	v_lshlrev_b32_e32 v61, 3, v22
	v_fma_f64 v[4:5], v[10:11], 2.0, -v[6:7]
	v_add_u32_e32 v10, 0, v61
	v_add_f64 v[26:27], v[14:15], -v[18:19]
	v_lshl_add_u32 v18, v60, 4, v10
	ds_write_b128 v18, v[0:3]
	s_waitcnt vmcnt(0)
	v_add_f64 v[2:3], v[42:43], -v[54:55]
	v_add_u32_e32 v64, 0x138, v60
	v_fma_f64 v[0:1], v[42:43], 2.0, -v[2:3]
	v_lshl_add_u32 v38, v64, 4, v10
	v_add_f64 v[30:31], v[34:35], -v[46:47]
	v_add_u32_e32 v66, 0x4e, v60
	v_add_u32_e32 v67, 0x9c, v60
	;; [unrolled: 1-line block ×3, first 2 shown]
	ds_write_b128 v38, v[0:3]
	v_lshlrev_b32_e32 v0, 3, v60
	v_fma_f64 v[24:25], v[14:15], 2.0, -v[26:27]
	v_fma_f64 v[28:29], v[34:35], 2.0, -v[30:31]
	v_lshl_add_u32 v19, v66, 4, v10
	v_lshl_add_u32 v22, v67, 4, v10
	;; [unrolled: 1-line block ×3, first 2 shown]
	v_add_u32_e32 v90, v10, v0
	v_add3_u32 v91, 0, v0, v61
	s_load_dwordx2 s[4:5], s[2:3], 0x0
	ds_write_b128 v19, v[4:7]
	ds_write_b128 v22, v[24:27]
	;; [unrolled: 1-line block ×3, first 2 shown]
	s_waitcnt lgkmcnt(0)
	s_barrier
	v_add_u32_e32 v39, 0x800, v91
	v_add_u32_e32 v42, 0xc00, v91
	;; [unrolled: 1-line block ×3, first 2 shown]
	ds_read_b64 v[10:11], v90
	ds_read2_b64 v[32:35], v39 offset0:4 offset1:82
	ds_read2_b64 v[28:31], v42 offset0:32 offset1:136
	;; [unrolled: 1-line block ×4, first 2 shown]
	v_cmp_gt_u32_e64 s[2:3], 26, v60
                                        ; implicit-def: $vgpr0_vgpr1
                                        ; implicit-def: $vgpr50_vgpr51
	s_and_saveexec_b64 s[0:1], s[2:3]
	s_cbranch_execz .LBB0_14
; %bb.13:
	ds_read_b64 v[2:3], v91 offset:1872
	ds_read_b64 v[50:51], v91 offset:3952
	;; [unrolled: 1-line block ×3, first 2 shown]
.LBB0_14:
	s_or_b64 exec, exec, s[0:1]
	v_add_f64 v[70:71], v[8:9], -v[52:53]
	v_add_f64 v[48:49], v[36:37], -v[48:49]
	v_fma_f64 v[68:69], v[8:9], 2.0, -v[70:71]
	v_add_f64 v[74:75], v[12:13], -v[40:41]
	v_add_f64 v[82:83], v[16:17], -v[20:21]
	v_fma_f64 v[46:47], v[36:37], 2.0, -v[48:49]
	v_add_f64 v[14:15], v[44:45], -v[56:57]
	v_fma_f64 v[72:73], v[12:13], 2.0, -v[74:75]
	v_fma_f64 v[80:81], v[16:17], 2.0, -v[82:83]
	;; [unrolled: 1-line block ×3, first 2 shown]
	s_waitcnt lgkmcnt(0)
	s_barrier
	ds_write_b128 v18, v[68:71]
	ds_write_b128 v19, v[72:75]
	;; [unrolled: 1-line block ×5, first 2 shown]
	s_waitcnt lgkmcnt(0)
	s_barrier
	ds_read_b64 v[22:23], v90
	ds_read2_b64 v[44:47], v39 offset0:4 offset1:82
	ds_read2_b64 v[40:43], v42 offset0:32 offset1:136
	;; [unrolled: 1-line block ×4, first 2 shown]
                                        ; implicit-def: $vgpr8_vgpr9
                                        ; implicit-def: $vgpr20_vgpr21
	s_and_saveexec_b64 s[0:1], s[2:3]
	s_cbranch_execz .LBB0_16
; %bb.15:
	ds_read_b64 v[14:15], v91 offset:1872
	ds_read_b64 v[20:21], v91 offset:3952
	ds_read_b64 v[8:9], v91 offset:6032
.LBB0_16:
	s_or_b64 exec, exec, s[0:1]
	v_and_b32_e32 v65, 1, v60
	v_lshlrev_b32_e32 v12, 5, v65
	global_load_dwordx4 v[72:75], v12, s[8:9]
	global_load_dwordx4 v[82:85], v12, s[8:9] offset:16
	v_lshrrev_b32_e32 v12, 1, v60
	v_lshrrev_b32_e32 v13, 1, v66
	v_mul_u32_u24_e32 v12, 6, v12
	v_mul_u32_u24_e32 v13, 6, v13
	v_lshrrev_b32_e32 v48, 1, v67
	v_or_b32_e32 v12, v12, v65
	v_or_b32_e32 v13, v13, v65
	v_mul_u32_u24_e32 v48, 6, v48
	v_lshlrev_b32_e32 v12, 3, v12
	v_lshlrev_b32_e32 v13, 3, v13
	v_or_b32_e32 v81, v48, v65
	v_add3_u32 v80, 0, v12, v61
	v_add3_u32 v79, 0, v13, v61
	s_mov_b32 s0, 0xe8584caa
	s_mov_b32 s1, 0xbfebb67a
	;; [unrolled: 1-line block ×4, first 2 shown]
	v_lshrrev_b32_e32 v78, 1, v78
	s_waitcnt lgkmcnt(0)
	s_barrier
	s_waitcnt vmcnt(1)
	v_mul_f64 v[68:69], v[44:45], v[74:75]
	s_waitcnt vmcnt(0)
	v_mul_f64 v[70:71], v[42:43], v[84:85]
	v_mul_f64 v[76:77], v[32:33], v[74:75]
	v_mul_f64 v[48:49], v[46:47], v[74:75]
	v_mul_f64 v[86:87], v[34:35], v[74:75]
	v_mul_f64 v[88:89], v[30:31], v[84:85]
	v_mul_f64 v[66:67], v[36:37], v[84:85]
	v_mul_f64 v[12:13], v[40:41], v[74:75]
	v_mul_f64 v[92:93], v[28:29], v[74:75]
	v_mul_f64 v[94:95], v[24:25], v[84:85]
	v_mul_f64 v[56:57], v[38:39], v[84:85]
	v_mul_f64 v[96:97], v[26:27], v[84:85]
	v_mul_f64 v[52:53], v[20:21], v[74:75]
	v_mul_f64 v[98:99], v[50:51], v[74:75]
	v_mul_f64 v[54:55], v[8:9], v[84:85]
	v_mul_f64 v[84:85], v[0:1], v[84:85]
	v_fmac_f64_e32 v[68:69], v[32:33], v[72:73]
	v_fmac_f64_e32 v[70:71], v[30:31], v[82:83]
	v_fmac_f64_e32 v[48:49], v[34:35], v[72:73]
	v_fma_f64 v[44:45], v[44:45], v[72:73], -v[76:77]
	v_fma_f64 v[46:47], v[46:47], v[72:73], -v[86:87]
	v_fmac_f64_e32 v[12:13], v[28:29], v[72:73]
	v_fma_f64 v[42:43], v[42:43], v[82:83], -v[88:89]
	v_fma_f64 v[74:75], v[40:41], v[72:73], -v[92:93]
	v_fmac_f64_e32 v[66:67], v[24:25], v[82:83]
	v_fmac_f64_e32 v[56:57], v[26:27], v[82:83]
	v_fmac_f64_e32 v[52:53], v[50:51], v[72:73]
	v_fma_f64 v[50:51], v[20:21], v[72:73], -v[98:99]
	v_fmac_f64_e32 v[54:55], v[0:1], v[82:83]
	v_fma_f64 v[72:73], v[8:9], v[82:83], -v[84:85]
	v_add_f64 v[8:9], v[68:69], v[70:71]
	v_fma_f64 v[40:41], v[36:37], v[82:83], -v[94:95]
	v_fma_f64 v[76:77], v[38:39], v[82:83], -v[96:97]
	v_add_f64 v[0:1], v[10:11], v[68:69]
	v_add_f64 v[20:21], v[44:45], -v[42:43]
	v_add_f64 v[24:25], v[48:49], v[66:67]
	v_add_f64 v[32:33], v[12:13], v[56:57]
	;; [unrolled: 1-line block ×3, first 2 shown]
	v_fmac_f64_e32 v[10:11], -0.5, v[8:9]
	v_add_f64 v[28:29], v[4:5], v[48:49]
	v_add_f64 v[30:31], v[46:47], -v[40:41]
	v_add_f64 v[26:27], v[6:7], v[12:13]
	v_add_f64 v[34:35], v[2:3], v[52:53]
	v_add_f64 v[38:39], v[74:75], -v[76:77]
	v_add_f64 v[82:83], v[50:51], -v[72:73]
	v_fma_f64 v[24:25], -0.5, v[24:25], v[4:5]
	v_fmac_f64_e32 v[6:7], -0.5, v[32:33]
	v_fmac_f64_e32 v[2:3], -0.5, v[36:37]
	v_fma_f64 v[8:9], s[0:1], v[20:21], v[10:11]
	v_fmac_f64_e32 v[10:11], s[10:11], v[20:21]
	v_lshlrev_b32_e32 v20, 3, v81
	v_add_f64 v[26:27], v[26:27], v[56:57]
	v_add_f64 v[32:33], v[28:29], v[66:67]
	;; [unrolled: 1-line block ×4, first 2 shown]
	v_fma_f64 v[34:35], s[0:1], v[30:31], v[24:25]
	v_fmac_f64_e32 v[24:25], s[10:11], v[30:31]
	v_fma_f64 v[4:5], s[0:1], v[38:39], v[6:7]
	v_fmac_f64_e32 v[6:7], s[10:11], v[38:39]
	;; [unrolled: 2-line block ×3, first 2 shown]
	v_add3_u32 v81, 0, v20, v61
	ds_write2_b64 v80, v[0:1], v[8:9] offset1:2
	ds_write_b64 v80, v[10:11] offset:32
	ds_write2_b64 v79, v[32:33], v[34:35] offset1:2
	ds_write_b64 v79, v[24:25] offset:32
	;; [unrolled: 2-line block ×3, first 2 shown]
	s_and_saveexec_b64 s[0:1], s[2:3]
	s_cbranch_execz .LBB0_18
; %bb.17:
	v_mul_u32_u24_e32 v20, 6, v78
	v_or_b32_e32 v20, v20, v65
	v_lshlrev_b32_e32 v20, 3, v20
	v_add3_u32 v20, 0, v20, v61
	ds_write2_b64 v20, v[28:29], v[30:31] offset1:2
	ds_write_b64 v20, v[2:3] offset:32
.LBB0_18:
	s_or_b64 exec, exec, s[0:1]
	v_cmp_gt_u32_e64 s[0:1], 60, v60
	s_waitcnt lgkmcnt(0)
	s_barrier
	s_waitcnt lgkmcnt(0)
                                        ; implicit-def: $vgpr38_vgpr39
	s_and_saveexec_b64 s[10:11], s[0:1]
	s_cbranch_execz .LBB0_20
; %bb.19:
	v_add_u32_e32 v2, 0x800, v91
	ds_read_b64 v[0:1], v90
	ds_read2_b64 v[8:11], v91 offset0:60 offset1:120
	ds_read2_b64 v[32:35], v91 offset0:180 offset1:240
	;; [unrolled: 1-line block ×4, first 2 shown]
	v_add_u32_e32 v2, 0x1000, v91
	ds_read2_b64 v[36:39], v2 offset0:148 offset1:208
	ds_read2_b64 v[28:31], v2 offset0:28 offset1:88
	s_waitcnt lgkmcnt(1)
	v_mov_b64_e32 v[2:3], v[36:37]
.LBB0_20:
	s_or_b64 exec, exec, s[10:11]
	v_add_f64 v[20:21], v[22:23], v[44:45]
	v_add_f64 v[36:37], v[20:21], v[42:43]
	v_add_f64 v[20:21], v[44:45], v[42:43]
	s_mov_b32 s10, 0xe8584caa
	v_fmac_f64_e32 v[22:23], -0.5, v[20:21]
	v_add_f64 v[42:43], v[68:69], -v[70:71]
	s_mov_b32 s11, 0x3febb67a
	s_mov_b32 s13, 0xbfebb67a
	;; [unrolled: 1-line block ×3, first 2 shown]
	v_fma_f64 v[20:21], s[10:11], v[42:43], v[22:23]
	v_fmac_f64_e32 v[22:23], s[12:13], v[42:43]
	v_add_f64 v[42:43], v[16:17], v[46:47]
	v_add_f64 v[44:45], v[42:43], v[40:41]
	;; [unrolled: 1-line block ×3, first 2 shown]
	v_fma_f64 v[40:41], -0.5, v[40:41], v[16:17]
	v_add_f64 v[16:17], v[48:49], -v[66:67]
	v_fma_f64 v[46:47], s[10:11], v[16:17], v[40:41]
	v_fmac_f64_e32 v[40:41], s[12:13], v[16:17]
	v_add_f64 v[16:17], v[18:19], v[74:75]
	v_add_f64 v[42:43], v[16:17], v[76:77]
	;; [unrolled: 1-line block ×3, first 2 shown]
	v_fmac_f64_e32 v[18:19], -0.5, v[16:17]
	v_add_f64 v[12:13], v[12:13], -v[56:57]
	v_fma_f64 v[16:17], s[10:11], v[12:13], v[18:19]
	v_fmac_f64_e32 v[18:19], s[12:13], v[12:13]
	v_add_f64 v[12:13], v[14:15], v[50:51]
	v_add_f64 v[48:49], v[12:13], v[72:73]
	;; [unrolled: 1-line block ×3, first 2 shown]
	v_fmac_f64_e32 v[14:15], -0.5, v[12:13]
	v_add_f64 v[12:13], v[52:53], -v[54:55]
	v_fma_f64 v[50:51], s[10:11], v[12:13], v[14:15]
	v_fmac_f64_e32 v[14:15], s[12:13], v[12:13]
	s_waitcnt lgkmcnt(0)
	s_barrier
	ds_write2_b64 v80, v[36:37], v[20:21] offset1:2
	ds_write_b64 v80, v[22:23] offset:32
	ds_write2_b64 v79, v[44:45], v[46:47] offset1:2
	ds_write_b64 v79, v[40:41] offset:32
	;; [unrolled: 2-line block ×3, first 2 shown]
	s_and_saveexec_b64 s[10:11], s[2:3]
	s_cbranch_execz .LBB0_22
; %bb.21:
	v_mul_u32_u24_e32 v12, 6, v78
	v_or_b32_e32 v12, v12, v65
	v_lshlrev_b32_e32 v12, 3, v12
	v_add3_u32 v12, 0, v12, v61
	ds_write2_b64 v12, v[48:49], v[50:51] offset1:2
	ds_write_b64 v12, v[14:15] offset:32
.LBB0_22:
	s_or_b64 exec, exec, s[10:11]
	s_waitcnt lgkmcnt(0)
	s_barrier
	s_waitcnt lgkmcnt(0)
                                        ; implicit-def: $vgpr54_vgpr55
	s_and_saveexec_b64 s[2:3], s[0:1]
	s_cbranch_execz .LBB0_24
; %bb.23:
	v_add_u32_e32 v12, 0x800, v91
	ds_read_b64 v[36:37], v90
	ds_read2_b64 v[20:23], v91 offset0:60 offset1:120
	ds_read2_b64 v[44:47], v91 offset0:180 offset1:240
	;; [unrolled: 1-line block ×4, first 2 shown]
	v_add_u32_e32 v12, 0x1000, v91
	ds_read2_b64 v[52:55], v12 offset0:148 offset1:208
	ds_read2_b64 v[48:51], v12 offset0:28 offset1:88
	s_waitcnt lgkmcnt(1)
	v_mov_b64_e32 v[14:15], v[52:53]
.LBB0_24:
	s_or_b64 exec, exec, s[2:3]
	s_movk_i32 s2, 0xab
	v_mul_lo_u16_sdwa v12, v60, s2 dst_sel:DWORD dst_unused:UNUSED_PAD src0_sel:BYTE_0 src1_sel:DWORD
	v_lshrrev_b16_e32 v65, 10, v12
	v_mul_lo_u16_e32 v12, 6, v65
	v_sub_u16_e32 v92, v60, v12
	v_mov_b32_e32 v12, 12
	v_mul_u32_u24_sdwa v12, v92, v12 dst_sel:DWORD dst_unused:UNUSED_PAD src0_sel:BYTE_0 src1_sel:DWORD
	v_lshlrev_b32_e32 v12, 4, v12
	global_load_dwordx4 v[70:73], v12, s[8:9] offset:64
	global_load_dwordx4 v[82:85], v12, s[8:9] offset:80
	;; [unrolled: 1-line block ×12, first 2 shown]
	s_waitcnt lgkmcnt(0)
	s_barrier
	s_waitcnt vmcnt(11)
	v_mul_f64 v[78:79], v[20:21], v[72:73]
	v_mul_f64 v[12:13], v[8:9], v[72:73]
	s_waitcnt vmcnt(10)
	v_mul_f64 v[74:75], v[22:23], v[84:85]
	v_mul_f64 v[56:57], v[10:11], v[84:85]
	s_waitcnt vmcnt(9)
	v_mul_f64 v[68:69], v[44:45], v[88:89]
	v_mul_f64 v[72:73], v[32:33], v[88:89]
	s_waitcnt vmcnt(8)
	v_mul_f64 v[66:67], v[46:47], v[96:97]
	v_mul_f64 v[84:85], v[34:35], v[96:97]
	v_fmac_f64_e32 v[78:79], v[8:9], v[70:71]
	v_fma_f64 v[80:81], v[20:21], v[70:71], -v[12:13]
	s_waitcnt vmcnt(7)
	v_mul_f64 v[52:53], v[40:41], v[100:101]
	v_mul_f64 v[8:9], v[24:25], v[100:101]
	v_fmac_f64_e32 v[74:75], v[10:11], v[82:83]
	s_waitcnt vmcnt(6)
	v_mul_f64 v[20:21], v[42:43], v[104:105]
	v_mul_f64 v[10:11], v[26:27], v[104:105]
	v_fma_f64 v[76:77], v[22:23], v[82:83], -v[56:57]
	s_waitcnt vmcnt(5)
	v_mul_f64 v[22:23], v[16:17], v[108:109]
	v_mul_f64 v[12:13], v[4:5], v[108:109]
	s_waitcnt vmcnt(4)
	v_mul_f64 v[56:57], v[18:19], v[112:113]
	v_mul_f64 v[88:89], v[6:7], v[112:113]
	v_fmac_f64_e32 v[68:69], v[32:33], v[86:87]
	v_fma_f64 v[70:71], v[44:45], v[86:87], -v[72:73]
	s_waitcnt vmcnt(3)
	v_mul_f64 v[44:45], v[48:49], v[116:117]
	v_mul_f64 v[86:87], v[28:29], v[116:117]
	v_fmac_f64_e32 v[66:67], v[34:35], v[94:95]
	s_waitcnt vmcnt(2)
	v_mul_f64 v[72:73], v[50:51], v[120:121]
	v_mul_f64 v[96:97], v[30:31], v[120:121]
	v_fma_f64 v[34:35], v[46:47], v[94:95], -v[84:85]
	s_waitcnt vmcnt(1)
	v_mul_f64 v[46:47], v[14:15], v[124:125]
	v_mul_f64 v[84:85], v[2:3], v[124:125]
	s_waitcnt vmcnt(0)
	v_mul_f64 v[82:83], v[54:55], v[128:129]
	v_mul_f64 v[94:95], v[38:39], v[128:129]
	v_fmac_f64_e32 v[52:53], v[24:25], v[98:99]
	v_fma_f64 v[32:33], v[40:41], v[98:99], -v[8:9]
	v_fmac_f64_e32 v[20:21], v[26:27], v[102:103]
	v_fma_f64 v[24:25], v[42:43], v[102:103], -v[10:11]
	;; [unrolled: 2-line block ×8, first 2 shown]
	s_and_saveexec_b64 s[2:3], s[0:1]
	s_cbranch_execz .LBB0_26
; %bb.25:
	s_mov_b32 s20, 0x4bc48dbf
	v_add_f64 v[54:55], v[80:81], -v[42:43]
	s_mov_b32 s21, 0xbfcea1e5
	s_mov_b32 s24, 0x93053d00
	s_mov_b32 s16, 0x24c2f84
	v_add_f64 v[48:49], v[76:77], -v[40:41]
	s_mov_b32 s23, 0x3fddbe06
	s_mov_b32 s22, 0x4267c47c
	;; [unrolled: 1-line block ×3, first 2 shown]
	v_add_f64 v[26:27], v[78:79], v[82:83]
	v_mul_f64 v[96:97], v[54:55], s[20:21]
	s_mov_b32 s25, 0xbfef11f4
	s_mov_b32 s36, 0x42a4c3d2
	v_add_f64 v[14:15], v[70:71], -v[30:31]
	s_mov_b32 s17, 0xbfe5384d
	s_mov_b32 s14, 0xd0032e0c
	v_add_f64 v[12:13], v[74:75], v[46:47]
	v_mul_f64 v[94:95], v[48:49], s[22:23]
	s_mov_b32 s19, 0x3fec55a7
	v_fma_f64 v[84:85], v[26:27], s[24:25], -v[96:97]
	v_fmac_f64_e32 v[96:97], s[24:25], v[26:27]
	s_mov_b32 s10, 0x2ef20147
	v_add_f64 v[10:11], v[34:35], -v[28:29]
	s_mov_b32 s37, 0x3fea55e2
	s_mov_b32 s12, 0x1ea71119
	v_add_f64 v[8:9], v[68:69], v[72:73]
	v_mul_f64 v[88:89], v[14:15], s[16:17]
	s_mov_b32 s15, 0xbfe7f3cc
	v_fma_f64 v[38:39], v[12:13], s[18:19], -v[94:95]
	v_add_f64 v[84:85], v[0:1], v[84:85]
	v_fmac_f64_e32 v[94:95], s[18:19], v[12:13]
	v_add_f64 v[96:97], v[0:1], v[96:97]
	v_add_f64 v[4:5], v[32:33], -v[18:19]
	s_mov_b32 s11, 0xbfedeba7
	v_add_f64 v[6:7], v[66:67], v[44:45]
	v_mul_f64 v[50:51], v[10:11], s[36:37]
	s_mov_b32 s13, 0x3fe22d96
	v_add_f64 v[38:39], v[38:39], v[84:85]
	v_fma_f64 v[84:85], v[8:9], s[14:15], -v[88:89]
	s_mov_b32 s26, 0xb2365da1
	s_mov_b32 s30, 0x66966769
	v_add_f64 v[94:95], v[94:95], v[96:97]
	v_fmac_f64_e32 v[88:89], s[14:15], v[8:9]
	v_add_f64 v[2:3], v[52:53], v[56:57]
	v_add_f64 v[38:39], v[84:85], v[38:39]
	v_fma_f64 v[84:85], v[6:7], s[12:13], -v[50:51]
	v_mul_f64 v[98:99], v[4:5], s[10:11]
	s_mov_b32 s27, 0xbfd6b1d8
	s_mov_b32 s31, 0x3fefc445
	;; [unrolled: 1-line block ×3, first 2 shown]
	v_add_f64 v[88:89], v[88:89], v[94:95]
	v_fmac_f64_e32 v[50:51], s[12:13], v[6:7]
	v_mul_f64 v[94:95], v[54:55], s[16:17]
	v_add_f64 v[38:39], v[84:85], v[38:39]
	v_fma_f64 v[84:85], v[2:3], s[26:27], -v[98:99]
	s_mov_b32 s29, 0x3fbedb7d
	v_add_f64 v[86:87], v[24:25], -v[16:17]
	v_add_f64 v[50:51], v[50:51], v[88:89]
	v_fmac_f64_e32 v[98:99], s[26:27], v[2:3]
	v_fma_f64 v[88:89], v[26:27], s[14:15], -v[94:95]
	v_mul_f64 v[96:97], v[48:49], s[30:31]
	v_add_f64 v[38:39], v[84:85], v[38:39]
	v_add_f64 v[84:85], v[20:21], v[22:23]
	v_mul_f64 v[100:101], v[86:87], s[30:31]
	v_add_f64 v[50:51], v[98:99], v[50:51]
	v_add_f64 v[88:89], v[0:1], v[88:89]
	v_fma_f64 v[98:99], v[12:13], s[28:29], -v[96:97]
	s_mov_b32 s35, 0xbfea55e2
	s_mov_b32 s34, s36
	v_fma_f64 v[102:103], v[84:85], s[28:29], -v[100:101]
	v_fmac_f64_e32 v[100:101], s[28:29], v[84:85]
	v_add_f64 v[88:89], v[98:99], v[88:89]
	v_mul_f64 v[98:99], v[14:15], s[34:35]
	v_add_f64 v[50:51], v[100:101], v[50:51]
	v_fma_f64 v[100:101], v[8:9], s[12:13], -v[98:99]
	s_mov_b32 s43, 0x3fcea1e5
	s_mov_b32 s42, s20
	v_fmac_f64_e32 v[94:95], s[14:15], v[26:27]
	v_add_f64 v[88:89], v[100:101], v[88:89]
	v_mul_f64 v[100:101], v[10:11], s[42:43]
	v_fmac_f64_e32 v[96:97], s[28:29], v[12:13]
	v_add_f64 v[94:95], v[0:1], v[94:95]
	v_add_f64 v[38:39], v[102:103], v[38:39]
	v_fma_f64 v[102:103], v[6:7], s[24:25], -v[100:101]
	v_add_f64 v[94:95], v[96:97], v[94:95]
	v_fmac_f64_e32 v[98:99], s[12:13], v[8:9]
	v_add_f64 v[88:89], v[102:103], v[88:89]
	v_mul_f64 v[102:103], v[4:5], s[22:23]
	v_add_f64 v[94:95], v[98:99], v[94:95]
	v_fmac_f64_e32 v[100:101], s[24:25], v[6:7]
	s_mov_b32 s41, 0x3fe5384d
	s_mov_b32 s40, s16
	v_mul_f64 v[96:97], v[54:55], s[10:11]
	v_fma_f64 v[104:105], v[2:3], s[18:19], -v[102:103]
	v_add_f64 v[94:95], v[100:101], v[94:95]
	v_fmac_f64_e32 v[102:103], s[18:19], v[2:3]
	v_fma_f64 v[98:99], v[26:27], s[26:27], -v[96:97]
	v_mul_f64 v[100:101], v[48:49], s[40:41]
	v_add_f64 v[88:89], v[104:105], v[88:89]
	v_mul_f64 v[104:105], v[86:87], s[10:11]
	v_add_f64 v[94:95], v[102:103], v[94:95]
	v_add_f64 v[98:99], v[0:1], v[98:99]
	v_fma_f64 v[102:103], v[12:13], s[14:15], -v[100:101]
	v_fma_f64 v[106:107], v[84:85], s[26:27], -v[104:105]
	v_fmac_f64_e32 v[104:105], s[26:27], v[84:85]
	v_add_f64 v[98:99], v[102:103], v[98:99]
	v_mul_f64 v[102:103], v[14:15], s[22:23]
	v_add_f64 v[94:95], v[104:105], v[94:95]
	v_fma_f64 v[104:105], v[8:9], s[18:19], -v[102:103]
	s_mov_b32 s39, 0xbfefc445
	s_mov_b32 s38, s30
	v_fmac_f64_e32 v[96:97], s[26:27], v[26:27]
	v_add_f64 v[98:99], v[104:105], v[98:99]
	v_mul_f64 v[104:105], v[10:11], s[38:39]
	v_fmac_f64_e32 v[100:101], s[14:15], v[12:13]
	v_add_f64 v[96:97], v[0:1], v[96:97]
	v_add_f64 v[88:89], v[106:107], v[88:89]
	v_fma_f64 v[106:107], v[6:7], s[28:29], -v[104:105]
	v_add_f64 v[96:97], v[100:101], v[96:97]
	v_fmac_f64_e32 v[102:103], s[18:19], v[8:9]
	v_add_f64 v[98:99], v[106:107], v[98:99]
	v_mul_f64 v[106:107], v[4:5], s[42:43]
	v_add_f64 v[96:97], v[102:103], v[96:97]
	v_fmac_f64_e32 v[104:105], s[28:29], v[6:7]
	v_mul_f64 v[100:101], v[54:55], s[38:39]
	v_fma_f64 v[108:109], v[2:3], s[24:25], -v[106:107]
	v_add_f64 v[96:97], v[104:105], v[96:97]
	v_fmac_f64_e32 v[106:107], s[24:25], v[2:3]
	v_fma_f64 v[102:103], v[26:27], s[28:29], -v[100:101]
	v_mul_f64 v[104:105], v[48:49], s[20:21]
	v_add_f64 v[98:99], v[108:109], v[98:99]
	v_mul_f64 v[108:109], v[86:87], s[36:37]
	v_add_f64 v[96:97], v[106:107], v[96:97]
	v_add_f64 v[102:103], v[0:1], v[102:103]
	v_fma_f64 v[106:107], v[12:13], s[24:25], -v[104:105]
	s_mov_b32 s37, 0x3fedeba7
	s_mov_b32 s36, s10
	v_fma_f64 v[110:111], v[84:85], s[12:13], -v[108:109]
	v_fmac_f64_e32 v[108:109], s[12:13], v[84:85]
	v_add_f64 v[102:103], v[106:107], v[102:103]
	v_mul_f64 v[106:107], v[14:15], s[36:37]
	v_add_f64 v[96:97], v[108:109], v[96:97]
	v_fma_f64 v[108:109], v[8:9], s[26:27], -v[106:107]
	v_fmac_f64_e32 v[100:101], s[28:29], v[26:27]
	v_add_f64 v[102:103], v[108:109], v[102:103]
	v_mul_f64 v[108:109], v[10:11], s[22:23]
	v_fmac_f64_e32 v[104:105], s[24:25], v[12:13]
	v_add_f64 v[100:101], v[0:1], v[100:101]
	v_add_f64 v[98:99], v[110:111], v[98:99]
	v_fma_f64 v[110:111], v[6:7], s[18:19], -v[108:109]
	v_add_f64 v[100:101], v[104:105], v[100:101]
	v_fmac_f64_e32 v[106:107], s[26:27], v[8:9]
	v_add_f64 v[102:103], v[110:111], v[102:103]
	v_mul_f64 v[110:111], v[4:5], s[34:35]
	v_add_f64 v[100:101], v[106:107], v[100:101]
	v_fmac_f64_e32 v[108:109], s[18:19], v[6:7]
	v_mul_f64 v[104:105], v[54:55], s[34:35]
	v_fma_f64 v[112:113], v[2:3], s[12:13], -v[110:111]
	v_add_f64 v[100:101], v[108:109], v[100:101]
	v_fmac_f64_e32 v[110:111], s[12:13], v[2:3]
	v_fma_f64 v[106:107], v[26:27], s[12:13], -v[104:105]
	v_mul_f64 v[108:109], v[48:49], s[10:11]
	v_add_f64 v[102:103], v[112:113], v[102:103]
	v_mul_f64 v[112:113], v[86:87], s[16:17]
	v_add_f64 v[100:101], v[110:111], v[100:101]
	v_add_f64 v[106:107], v[0:1], v[106:107]
	v_fma_f64 v[110:111], v[12:13], s[26:27], -v[108:109]
	v_fma_f64 v[114:115], v[84:85], s[14:15], -v[112:113]
	v_fmac_f64_e32 v[112:113], s[14:15], v[84:85]
	v_add_f64 v[106:107], v[110:111], v[106:107]
	v_mul_f64 v[110:111], v[14:15], s[20:21]
	v_add_f64 v[100:101], v[112:113], v[100:101]
	v_fma_f64 v[112:113], v[8:9], s[24:25], -v[110:111]
	v_add_f64 v[106:107], v[112:113], v[106:107]
	v_mul_f64 v[112:113], v[10:11], s[40:41]
	v_add_f64 v[102:103], v[114:115], v[102:103]
	v_fma_f64 v[114:115], v[6:7], s[14:15], -v[112:113]
	v_add_f64 v[106:107], v[114:115], v[106:107]
	v_mul_f64 v[114:115], v[4:5], s[30:31]
	v_fma_f64 v[116:117], v[2:3], s[28:29], -v[114:115]
	v_add_f64 v[106:107], v[116:117], v[106:107]
	v_mul_f64 v[116:117], v[86:87], s[22:23]
	v_fmac_f64_e32 v[104:105], s[12:13], v[26:27]
	s_mov_b32 s23, 0xbfddbe06
	v_fmac_f64_e32 v[108:109], s[26:27], v[12:13]
	v_add_f64 v[104:105], v[0:1], v[104:105]
	v_mul_f64 v[54:55], v[54:55], s[22:23]
	v_add_f64 v[104:105], v[108:109], v[104:105]
	v_fmac_f64_e32 v[110:111], s[24:25], v[8:9]
	v_mul_f64 v[48:49], v[48:49], s[34:35]
	v_fma_f64 v[108:109], v[26:27], s[18:19], -v[54:55]
	v_add_f64 v[104:105], v[110:111], v[104:105]
	v_add_f64 v[108:109], v[0:1], v[108:109]
	v_fma_f64 v[110:111], v[12:13], s[12:13], -v[48:49]
	v_mul_f64 v[14:15], v[14:15], s[38:39]
	v_add_f64 v[108:109], v[110:111], v[108:109]
	v_fma_f64 v[110:111], v[8:9], s[28:29], -v[14:15]
	v_mul_f64 v[10:11], v[10:11], s[10:11]
	;; [unrolled: 3-line block ×3, first 2 shown]
	v_fmac_f64_e32 v[54:55], s[18:19], v[26:27]
	v_fmac_f64_e32 v[114:115], s[28:29], v[2:3]
	v_add_f64 v[108:109], v[110:111], v[108:109]
	v_fma_f64 v[110:111], v[2:3], s[14:15], -v[4:5]
	v_fmac_f64_e32 v[4:5], s[14:15], v[2:3]
	v_add_f64 v[2:3], v[0:1], v[54:55]
	v_add_f64 v[0:1], v[0:1], v[78:79]
	;; [unrolled: 1-line block ×6, first 2 shown]
	v_fmac_f64_e32 v[48:49], s[12:13], v[12:13]
	v_add_f64 v[0:1], v[0:1], v[20:21]
	v_fmac_f64_e32 v[14:15], s[28:29], v[8:9]
	v_add_f64 v[2:3], v[48:49], v[2:3]
	v_add_f64 v[0:1], v[0:1], v[22:23]
	v_fmac_f64_e32 v[10:11], s[26:27], v[6:7]
	v_add_f64 v[2:3], v[14:15], v[2:3]
	v_add_f64 v[0:1], v[0:1], v[56:57]
	v_add_f64 v[2:3], v[10:11], v[2:3]
	v_add_f64 v[0:1], v[0:1], v[44:45]
	v_fmac_f64_e32 v[112:113], s[14:15], v[6:7]
	v_mul_f64 v[86:87], v[86:87], s[20:21]
	v_add_f64 v[2:3], v[4:5], v[2:3]
	v_add_f64 v[0:1], v[0:1], v[72:73]
	s_movk_i32 s10, 0x270
	v_mov_b32_e32 v5, 3
	v_add_f64 v[104:105], v[112:113], v[104:105]
	v_add_f64 v[108:109], v[110:111], v[108:109]
	v_fma_f64 v[110:111], v[84:85], s[24:25], -v[86:87]
	v_fmac_f64_e32 v[86:87], s[24:25], v[84:85]
	v_add_f64 v[0:1], v[0:1], v[46:47]
	v_mad_u32_u24 v4, v65, s10, 0
	v_lshlrev_b32_sdwa v5, v5, v92 dst_sel:DWORD dst_unused:UNUSED_PAD src0_sel:DWORD src1_sel:BYTE_0
	v_fma_f64 v[118:119], v[84:85], s[18:19], -v[116:117]
	v_add_f64 v[104:105], v[114:115], v[104:105]
	v_fmac_f64_e32 v[116:117], s[18:19], v[84:85]
	v_add_f64 v[2:3], v[86:87], v[2:3]
	v_add_f64 v[0:1], v[0:1], v[82:83]
	v_add3_u32 v4, v4, v5, v61
	v_add_f64 v[106:107], v[118:119], v[106:107]
	v_add_f64 v[104:105], v[116:117], v[104:105]
	;; [unrolled: 1-line block ×3, first 2 shown]
	ds_write2_b64 v4, v[0:1], v[2:3] offset1:6
	ds_write2_b64 v4, v[104:105], v[100:101] offset0:12 offset1:18
	ds_write2_b64 v4, v[96:97], v[94:95] offset0:24 offset1:30
	;; [unrolled: 1-line block ×5, first 2 shown]
	ds_write_b64 v4, v[108:109] offset:576
.LBB0_26:
	s_or_b64 exec, exec, s[2:3]
	v_add_u32_e32 v54, 0x400, v91
	v_add_u32_e32 v50, 0x800, v91
	;; [unrolled: 1-line block ×3, first 2 shown]
	s_waitcnt lgkmcnt(0)
	s_barrier
	ds_read2_b64 v[0:3], v91 offset0:78 offset1:156
	ds_read2_b64 v[4:7], v54 offset0:106 offset1:184
	;; [unrolled: 1-line block ×4, first 2 shown]
	ds_read_b64 v[26:27], v90
	ds_read_b64 v[38:39], v91 offset:5616
	s_waitcnt lgkmcnt(0)
	s_barrier
	s_and_saveexec_b64 s[2:3], s[0:1]
	s_cbranch_execz .LBB0_28
; %bb.27:
	v_add_f64 v[48:49], v[36:37], v[80:81]
	v_add_f64 v[48:49], v[48:49], v[76:77]
	;; [unrolled: 1-line block ×11, first 2 shown]
	s_mov_b32 s0, 0xe00740e9
	s_mov_b32 s12, 0x1ea71119
	;; [unrolled: 1-line block ×6, first 2 shown]
	v_add_f64 v[48:49], v[48:49], v[42:43]
	v_add_f64 v[42:43], v[80:81], v[42:43]
	s_mov_b32 s1, 0x3fec55a7
	s_mov_b32 s10, 0x4267c47c
	;; [unrolled: 1-line block ×12, first 2 shown]
	v_add_f64 v[78:79], v[78:79], -v[82:83]
	v_mul_f64 v[80:81], v[42:43], s[0:1]
	s_mov_b32 s11, 0x3fddbe06
	s_mov_b32 s17, 0xbfddbe06
	s_mov_b32 s16, s10
	v_mul_f64 v[84:85], v[42:43], s[12:13]
	s_mov_b32 s15, 0x3fea55e2
	s_mov_b32 s23, 0xbfea55e2
	s_mov_b32 s22, s14
	;; [unrolled: 4-line block ×6, first 2 shown]
	v_fma_f64 v[82:83], s[10:11], v[78:79], v[80:81]
	v_fmac_f64_e32 v[80:81], s[16:17], v[78:79]
	v_fma_f64 v[86:87], s[14:15], v[78:79], v[84:85]
	v_fmac_f64_e32 v[84:85], s[22:23], v[78:79]
	;; [unrolled: 2-line block ×6, first 2 shown]
	v_add_f64 v[40:41], v[76:77], v[40:41]
	v_add_f64 v[82:83], v[36:37], v[82:83]
	;; [unrolled: 1-line block ×13, first 2 shown]
	v_add_f64 v[42:43], v[74:75], -v[46:47]
	v_mul_f64 v[46:47], v[40:41], s[12:13]
	v_fma_f64 v[74:75], s[14:15], v[42:43], v[46:47]
	v_fmac_f64_e32 v[46:47], s[22:23], v[42:43]
	v_mul_f64 v[76:77], v[40:41], s[26:27]
	v_add_f64 v[46:47], v[46:47], v[80:81]
	v_fma_f64 v[78:79], s[28:29], v[42:43], v[76:77]
	v_fmac_f64_e32 v[76:77], s[30:31], v[42:43]
	v_mul_f64 v[80:81], v[40:41], s[40:41]
	v_add_f64 v[74:75], v[74:75], v[82:83]
	v_add_f64 v[76:77], v[76:77], v[84:85]
	v_fma_f64 v[82:83], s[42:43], v[42:43], v[80:81]
	v_fmac_f64_e32 v[80:81], s[44:45], v[42:43]
	v_mul_f64 v[84:85], v[40:41], s[34:35]
	v_add_f64 v[78:79], v[78:79], v[86:87]
	v_add_f64 v[80:81], v[80:81], v[88:89]
	v_fma_f64 v[86:87], s[38:39], v[42:43], v[84:85]
	v_fmac_f64_e32 v[84:85], s[36:37], v[42:43]
	v_mul_f64 v[88:89], v[40:41], s[18:19]
	v_mul_f64 v[40:41], v[40:41], s[0:1]
	v_add_f64 v[84:85], v[84:85], v[96:97]
	v_fma_f64 v[96:97], s[16:17], v[42:43], v[40:41]
	v_fmac_f64_e32 v[40:41], s[10:11], v[42:43]
	v_add_f64 v[30:31], v[70:71], v[30:31]
	v_add_f64 v[82:83], v[82:83], v[94:95]
	v_fma_f64 v[94:95], s[24:25], v[42:43], v[88:89]
	v_fmac_f64_e32 v[88:89], s[20:21], v[42:43]
	v_add_f64 v[36:37], v[40:41], v[36:37]
	v_add_f64 v[40:41], v[68:69], -v[72:73]
	v_mul_f64 v[42:43], v[30:31], s[18:19]
	v_fma_f64 v[68:69], s[20:21], v[40:41], v[42:43]
	v_fmac_f64_e32 v[42:43], s[24:25], v[40:41]
	v_add_f64 v[42:43], v[42:43], v[46:47]
	v_mul_f64 v[46:47], v[30:31], s[40:41]
	v_fma_f64 v[70:71], s[42:43], v[40:41], v[46:47]
	v_fmac_f64_e32 v[46:47], s[44:45], v[40:41]
	v_mul_f64 v[72:73], v[30:31], s[26:27]
	v_add_f64 v[68:69], v[68:69], v[74:75]
	v_add_f64 v[46:47], v[46:47], v[76:77]
	v_fma_f64 v[74:75], s[30:31], v[40:41], v[72:73]
	v_fmac_f64_e32 v[72:73], s[28:29], v[40:41]
	v_mul_f64 v[76:77], v[30:31], s[0:1]
	v_add_f64 v[70:71], v[70:71], v[78:79]
	v_add_f64 v[72:73], v[72:73], v[80:81]
	v_fma_f64 v[78:79], s[16:17], v[40:41], v[76:77]
	v_fmac_f64_e32 v[76:77], s[10:11], v[40:41]
	v_mul_f64 v[80:81], v[30:31], s[12:13]
	v_mul_f64 v[30:31], v[30:31], s[34:35]
	v_add_f64 v[76:77], v[76:77], v[84:85]
	v_fma_f64 v[84:85], s[36:37], v[40:41], v[30:31]
	v_fmac_f64_e32 v[30:31], s[38:39], v[40:41]
	v_add_f64 v[28:29], v[34:35], v[28:29]
	v_add_f64 v[30:31], v[30:31], v[36:37]
	v_add_f64 v[34:35], v[66:67], -v[44:45]
	v_mul_f64 v[36:37], v[28:29], s[26:27]
	v_add_f64 v[74:75], v[74:75], v[82:83]
	v_fma_f64 v[82:83], s[14:15], v[40:41], v[80:81]
	v_fmac_f64_e32 v[80:81], s[22:23], v[40:41]
	v_fma_f64 v[40:41], s[28:29], v[34:35], v[36:37]
	v_fmac_f64_e32 v[36:37], s[30:31], v[34:35]
	v_add_f64 v[36:37], v[36:37], v[42:43]
	v_mul_f64 v[42:43], v[28:29], s[34:35]
	v_fma_f64 v[44:45], s[38:39], v[34:35], v[42:43]
	v_fmac_f64_e32 v[42:43], s[36:37], v[34:35]
	v_add_f64 v[42:43], v[42:43], v[46:47]
	v_mul_f64 v[46:47], v[28:29], s[0:1]
	v_add_f64 v[40:41], v[40:41], v[68:69]
	v_fma_f64 v[66:67], s[16:17], v[34:35], v[46:47]
	v_fmac_f64_e32 v[46:47], s[10:11], v[34:35]
	v_mul_f64 v[68:69], v[28:29], s[18:19]
	v_add_f64 v[44:45], v[44:45], v[70:71]
	v_add_f64 v[46:47], v[46:47], v[72:73]
	v_fma_f64 v[70:71], s[20:21], v[34:35], v[68:69]
	v_fmac_f64_e32 v[68:69], s[24:25], v[34:35]
	v_mul_f64 v[72:73], v[28:29], s[40:41]
	v_mul_f64 v[28:29], v[28:29], s[12:13]
	v_add_f64 v[68:69], v[68:69], v[76:77]
	v_fma_f64 v[76:77], s[22:23], v[34:35], v[28:29]
	v_fmac_f64_e32 v[28:29], s[14:15], v[34:35]
	v_add_f64 v[18:19], v[32:33], v[18:19]
	v_add_f64 v[28:29], v[28:29], v[30:31]
	v_add_f64 v[30:31], v[52:53], -v[56:57]
	v_mul_f64 v[32:33], v[18:19], s[34:35]
	v_add_f64 v[66:67], v[66:67], v[74:75]
	v_fma_f64 v[74:75], s[44:45], v[34:35], v[72:73]
	v_fmac_f64_e32 v[72:73], s[42:43], v[34:35]
	v_fma_f64 v[34:35], s[36:37], v[30:31], v[32:33]
	v_fmac_f64_e32 v[32:33], s[38:39], v[30:31]
	v_add_f64 v[32:33], v[32:33], v[36:37]
	v_mul_f64 v[36:37], v[18:19], s[18:19]
	v_add_f64 v[34:35], v[34:35], v[40:41]
	v_fma_f64 v[40:41], s[24:25], v[30:31], v[36:37]
	v_fmac_f64_e32 v[36:37], s[20:21], v[30:31]
	v_add_f64 v[36:37], v[36:37], v[42:43]
	v_mul_f64 v[42:43], v[18:19], s[12:13]
	v_add_f64 v[40:41], v[40:41], v[44:45]
	v_fma_f64 v[44:45], s[14:15], v[30:31], v[42:43]
	v_fmac_f64_e32 v[42:43], s[22:23], v[30:31]
	v_add_f64 v[42:43], v[42:43], v[46:47]
	v_mul_f64 v[46:47], v[18:19], s[40:41]
	v_fma_f64 v[52:53], s[44:45], v[30:31], v[46:47]
	v_fmac_f64_e32 v[46:47], s[42:43], v[30:31]
	v_mul_f64 v[56:57], v[18:19], s[0:1]
	v_mul_f64 v[18:19], v[18:19], s[26:27]
	v_add_f64 v[16:17], v[24:25], v[16:17]
	v_add_f64 v[46:47], v[46:47], v[68:69]
	v_fma_f64 v[68:69], s[28:29], v[30:31], v[18:19]
	v_fmac_f64_e32 v[18:19], s[30:31], v[30:31]
	v_add_f64 v[20:21], v[20:21], -v[22:23]
	v_mul_f64 v[22:23], v[16:17], s[40:41]
	v_add_f64 v[18:19], v[18:19], v[28:29]
	v_fma_f64 v[24:25], s[42:43], v[20:21], v[22:23]
	v_fmac_f64_e32 v[22:23], s[44:45], v[20:21]
	v_mul_f64 v[28:29], v[16:17], s[0:1]
	v_add_f64 v[44:45], v[44:45], v[66:67]
	v_fma_f64 v[66:67], s[16:17], v[30:31], v[56:57]
	v_fmac_f64_e32 v[56:57], s[10:11], v[30:31]
	v_add_f64 v[22:23], v[22:23], v[32:33]
	v_fma_f64 v[30:31], s[16:17], v[20:21], v[28:29]
	v_fmac_f64_e32 v[28:29], s[10:11], v[20:21]
	v_mul_f64 v[32:33], v[16:17], s[34:35]
	v_add_f64 v[24:25], v[24:25], v[34:35]
	v_add_f64 v[28:29], v[28:29], v[36:37]
	v_fma_f64 v[34:35], s[36:37], v[20:21], v[32:33]
	v_fmac_f64_e32 v[32:33], s[38:39], v[20:21]
	v_mul_f64 v[36:37], v[16:17], s[12:13]
	v_add_f64 v[30:31], v[30:31], v[40:41]
	v_add_f64 v[32:33], v[32:33], v[42:43]
	v_fma_f64 v[40:41], s[22:23], v[20:21], v[36:37]
	v_fmac_f64_e32 v[36:37], s[14:15], v[20:21]
	v_mul_f64 v[42:43], v[16:17], s[26:27]
	v_mul_f64 v[16:17], v[16:17], s[18:19]
	v_add_f64 v[86:87], v[86:87], v[98:99]
	v_add_f64 v[94:95], v[94:95], v[102:103]
	;; [unrolled: 1-line block ×5, first 2 shown]
	v_fma_f64 v[46:47], s[24:25], v[20:21], v[16:17]
	v_fmac_f64_e32 v[16:17], s[20:21], v[20:21]
	v_add_f64 v[78:79], v[78:79], v[86:87]
	v_add_f64 v[82:83], v[82:83], v[94:95]
	;; [unrolled: 1-line block ×5, first 2 shown]
	s_movk_i32 s0, 0x270
	v_mov_b32_e32 v19, 3
	v_add_f64 v[70:71], v[70:71], v[78:79]
	v_add_f64 v[74:75], v[74:75], v[82:83]
	;; [unrolled: 1-line block ×4, first 2 shown]
	v_mad_u32_u24 v18, v65, s0, 0
	v_lshlrev_b32_sdwa v19, v19, v92 dst_sel:DWORD dst_unused:UNUSED_PAD src0_sel:DWORD src1_sel:BYTE_0
	v_add_f64 v[52:53], v[52:53], v[70:71]
	v_add_f64 v[66:67], v[66:67], v[74:75]
	;; [unrolled: 1-line block ×5, first 2 shown]
	v_fma_f64 v[44:45], s[28:29], v[20:21], v[42:43]
	v_fmac_f64_e32 v[42:43], s[30:31], v[20:21]
	v_add3_u32 v18, v18, v19, v61
	v_add_f64 v[40:41], v[40:41], v[52:53]
	v_add_f64 v[44:45], v[44:45], v[66:67]
	;; [unrolled: 1-line block ×4, first 2 shown]
	ds_write2_b64 v18, v[48:49], v[24:25] offset1:6
	ds_write2_b64 v18, v[30:31], v[34:35] offset0:12 offset1:18
	ds_write2_b64 v18, v[40:41], v[44:45] offset0:24 offset1:30
	;; [unrolled: 1-line block ×5, first 2 shown]
	ds_write_b64 v18, v[22:23] offset:576
.LBB0_28:
	s_or_b64 exec, exec, s[2:3]
	v_lshlrev_b32_e32 v20, 2, v60
	v_mov_b32_e32 v21, 0
	v_lshl_add_u64 v[16:17], v[20:21], 4, s[8:9]
	s_waitcnt lgkmcnt(0)
	s_barrier
	global_load_dwordx4 v[28:31], v[16:17], off offset:1216
	global_load_dwordx4 v[32:35], v[16:17], off offset:1232
	;; [unrolled: 1-line block ×4, first 2 shown]
	ds_read2_b64 v[16:19], v91 offset0:78 offset1:156
	ds_read2_b64 v[66:69], v54 offset0:106 offset1:184
	;; [unrolled: 1-line block ×4, first 2 shown]
	ds_read_b64 v[22:23], v90
	ds_read_b64 v[24:25], v91 offset:5616
	s_mov_b32 s2, 0x134454ff
	s_mov_b32 s3, 0xbfee6f0e
	;; [unrolled: 1-line block ×10, first 2 shown]
	v_add_u32_e32 v20, 0xc00, v91
	s_waitcnt lgkmcnt(0)
	s_barrier
	s_waitcnt vmcnt(3)
	v_mul_f64 v[36:37], v[18:19], v[30:31]
	s_waitcnt vmcnt(2)
	v_mul_f64 v[52:53], v[68:69], v[34:35]
	;; [unrolled: 2-line block ×3, first 2 shown]
	v_mul_f64 v[48:49], v[2:3], v[30:31]
	s_waitcnt vmcnt(0)
	v_mul_f64 v[82:83], v[76:77], v[46:47]
	v_mul_f64 v[84:85], v[14:15], v[46:47]
	;; [unrolled: 1-line block ×4, first 2 shown]
	v_fmac_f64_e32 v[52:53], v[6:7], v[32:33]
	v_fmac_f64_e32 v[78:79], v[10:11], v[40:41]
	v_mul_f64 v[56:57], v[6:7], v[34:35]
	v_mul_f64 v[80:81], v[10:11], v[42:43]
	;; [unrolled: 1-line block ×8, first 2 shown]
	v_fmac_f64_e32 v[36:37], v[2:3], v[28:29]
	v_fma_f64 v[2:3], v[18:19], v[28:29], -v[48:49]
	v_fmac_f64_e32 v[82:83], v[14:15], v[44:45]
	v_fma_f64 v[14:15], v[76:77], v[44:45], -v[84:85]
	;; [unrolled: 2-line block ×3, first 2 shown]
	v_add_f64 v[28:29], v[52:53], v[78:79]
	v_fma_f64 v[6:7], v[68:69], v[32:33], -v[56:57]
	v_fma_f64 v[10:11], v[72:73], v[40:41], -v[80:81]
	v_fmac_f64_e32 v[88:89], v[8:9], v[32:33]
	v_fma_f64 v[8:9], v[70:71], v[32:33], -v[34:35]
	v_fmac_f64_e32 v[92:93], v[12:13], v[40:41]
	;; [unrolled: 2-line block ×3, first 2 shown]
	v_fma_f64 v[18:19], v[24:25], v[44:45], -v[46:47]
	v_add_f64 v[30:31], v[2:3], -v[14:15]
	v_add_f64 v[34:35], v[36:37], -v[52:53]
	v_add_f64 v[38:39], v[82:83], -v[78:79]
	v_add_f64 v[40:41], v[36:37], v[82:83]
	v_add_f64 v[42:43], v[52:53], -v[36:37]
	v_add_f64 v[44:45], v[78:79], -v[82:83]
	v_fma_f64 v[28:29], -0.5, v[28:29], v[26:27]
	v_add_f64 v[24:25], v[26:27], v[36:37]
	v_add_f64 v[32:33], v[6:7], -v[10:11]
	v_add_f64 v[46:47], v[22:23], v[2:3]
	v_add_f64 v[34:35], v[34:35], v[38:39]
	v_fmac_f64_e32 v[26:27], -0.5, v[40:41]
	v_add_f64 v[38:39], v[42:43], v[44:45]
	v_fma_f64 v[42:43], s[2:3], v[30:31], v[28:29]
	v_fmac_f64_e32 v[28:29], s[12:13], v[30:31]
	v_add_f64 v[40:41], v[46:47], v[6:7]
	v_fma_f64 v[44:45], s[12:13], v[32:33], v[26:27]
	v_fmac_f64_e32 v[26:27], s[2:3], v[32:33]
	v_fmac_f64_e32 v[42:43], s[0:1], v[32:33]
	;; [unrolled: 1-line block ×3, first 2 shown]
	v_add_f64 v[32:33], v[6:7], v[10:11]
	v_add_f64 v[40:41], v[40:41], v[10:11]
	v_fmac_f64_e32 v[44:45], s[0:1], v[30:31]
	v_fmac_f64_e32 v[26:27], s[14:15], v[30:31]
	;; [unrolled: 1-line block ×4, first 2 shown]
	v_fma_f64 v[32:33], -0.5, v[32:33], v[22:23]
	v_add_f64 v[34:35], v[36:37], -v[82:83]
	v_fmac_f64_e32 v[44:45], s[10:11], v[38:39]
	v_fmac_f64_e32 v[26:27], s[10:11], v[38:39]
	v_add_f64 v[30:31], v[40:41], v[14:15]
	v_fma_f64 v[36:37], s[12:13], v[34:35], v[32:33]
	v_add_f64 v[38:39], v[52:53], -v[78:79]
	v_add_f64 v[40:41], v[2:3], -v[6:7]
	;; [unrolled: 1-line block ×3, first 2 shown]
	v_fmac_f64_e32 v[32:33], s[2:3], v[34:35]
	v_fmac_f64_e32 v[36:37], s[14:15], v[38:39]
	v_add_f64 v[40:41], v[40:41], v[46:47]
	v_fmac_f64_e32 v[32:33], s[0:1], v[38:39]
	v_fmac_f64_e32 v[36:37], s[10:11], v[40:41]
	;; [unrolled: 1-line block ×3, first 2 shown]
	v_add_f64 v[40:41], v[2:3], v[14:15]
	v_add_f64 v[2:3], v[6:7], -v[2:3]
	v_add_f64 v[6:7], v[10:11], -v[14:15]
	v_fmac_f64_e32 v[22:23], -0.5, v[40:41]
	v_add_f64 v[2:3], v[2:3], v[6:7]
	v_add_f64 v[6:7], v[88:89], v[92:93]
	v_fma_f64 v[40:41], s[2:3], v[38:39], v[22:23]
	v_fmac_f64_e32 v[22:23], s[12:13], v[38:39]
	v_fma_f64 v[6:7], -0.5, v[6:7], v[0:1]
	v_add_f64 v[10:11], v[4:5], -v[18:19]
	v_fmac_f64_e32 v[40:41], s[14:15], v[34:35]
	v_fmac_f64_e32 v[22:23], s[0:1], v[34:35]
	v_fma_f64 v[14:15], s[2:3], v[10:11], v[6:7]
	v_add_f64 v[34:35], v[8:9], -v[12:13]
	v_add_f64 v[38:39], v[86:87], -v[88:89]
	;; [unrolled: 1-line block ×3, first 2 shown]
	v_fmac_f64_e32 v[6:7], s[12:13], v[10:11]
	v_fmac_f64_e32 v[14:15], s[0:1], v[34:35]
	v_add_f64 v[38:39], v[38:39], v[46:47]
	v_fmac_f64_e32 v[6:7], s[14:15], v[34:35]
	v_fmac_f64_e32 v[14:15], s[10:11], v[38:39]
	;; [unrolled: 1-line block ×3, first 2 shown]
	v_add_f64 v[38:39], v[86:87], v[94:95]
	v_fmac_f64_e32 v[40:41], s[10:11], v[2:3]
	v_fmac_f64_e32 v[22:23], s[10:11], v[2:3]
	v_add_f64 v[2:3], v[0:1], v[86:87]
	v_fmac_f64_e32 v[0:1], -0.5, v[38:39]
	v_fma_f64 v[38:39], s[12:13], v[34:35], v[0:1]
	v_fmac_f64_e32 v[0:1], s[2:3], v[34:35]
	v_fmac_f64_e32 v[38:39], s[0:1], v[10:11]
	;; [unrolled: 1-line block ×3, first 2 shown]
	v_add_f64 v[10:11], v[16:17], v[4:5]
	v_add_f64 v[10:11], v[10:11], v[8:9]
	v_add_f64 v[46:47], v[88:89], -v[86:87]
	v_add_f64 v[48:49], v[92:93], -v[94:95]
	v_add_f64 v[10:11], v[10:11], v[12:13]
	v_add_f64 v[46:47], v[46:47], v[48:49]
	;; [unrolled: 1-line block ×4, first 2 shown]
	v_fmac_f64_e32 v[38:39], s[10:11], v[46:47]
	v_fmac_f64_e32 v[0:1], s[10:11], v[46:47]
	v_fma_f64 v[46:47], -0.5, v[10:11], v[16:17]
	v_add_f64 v[10:11], v[86:87], -v[94:95]
	v_add_f64 v[24:25], v[24:25], v[52:53]
	v_fma_f64 v[48:49], s[12:13], v[10:11], v[46:47]
	v_add_f64 v[52:53], v[88:89], -v[92:93]
	v_add_f64 v[56:57], v[4:5], -v[8:9]
	;; [unrolled: 1-line block ×3, first 2 shown]
	v_fmac_f64_e32 v[46:47], s[2:3], v[10:11]
	v_fmac_f64_e32 v[48:49], s[14:15], v[52:53]
	v_add_f64 v[56:57], v[56:57], v[66:67]
	v_fmac_f64_e32 v[46:47], s[0:1], v[52:53]
	v_fmac_f64_e32 v[48:49], s[10:11], v[56:57]
	;; [unrolled: 1-line block ×3, first 2 shown]
	v_add_f64 v[56:57], v[4:5], v[18:19]
	v_add_f64 v[2:3], v[2:3], v[88:89]
	v_fmac_f64_e32 v[16:17], -0.5, v[56:57]
	v_add_f64 v[24:25], v[24:25], v[78:79]
	v_add_f64 v[2:3], v[2:3], v[92:93]
	v_fma_f64 v[56:57], s[2:3], v[52:53], v[16:17]
	v_add_f64 v[4:5], v[8:9], -v[4:5]
	v_add_f64 v[8:9], v[12:13], -v[18:19]
	v_fmac_f64_e32 v[16:17], s[12:13], v[52:53]
	v_add_f64 v[24:25], v[24:25], v[82:83]
	v_add_f64 v[2:3], v[2:3], v[94:95]
	v_fmac_f64_e32 v[56:57], s[14:15], v[10:11]
	v_add_f64 v[4:5], v[4:5], v[8:9]
	v_fmac_f64_e32 v[16:17], s[0:1], v[10:11]
	v_fmac_f64_e32 v[56:57], s[10:11], v[4:5]
	;; [unrolled: 1-line block ×3, first 2 shown]
	ds_write2_b64 v91, v[24:25], v[42:43] offset1:78
	ds_write2_b64 v91, v[44:45], v[26:27] offset0:156 offset1:234
	ds_write2_b64 v50, v[28:29], v[2:3] offset0:56 offset1:134
	;; [unrolled: 1-line block ×4, first 2 shown]
	s_waitcnt lgkmcnt(0)
	s_barrier
	ds_read2_b64 v[12:15], v50 offset0:134 offset1:212
	ds_read2_b64 v[0:3], v91 offset0:78 offset1:156
	;; [unrolled: 1-line block ×4, first 2 shown]
	ds_read_b64 v[18:19], v90
	ds_read_b64 v[24:25], v91 offset:5616
	s_waitcnt lgkmcnt(0)
	s_barrier
	ds_write2_b64 v91, v[30:31], v[36:37] offset1:78
	ds_write2_b64 v91, v[40:41], v[22:23] offset0:156 offset1:234
	ds_write2_b64 v50, v[32:33], v[34:35] offset0:56 offset1:134
	ds_write2_b64 v20, v[48:49], v[56:57] offset0:84 offset1:162
	ds_write2_b64 v51, v[16:17], v[46:47] offset0:112 offset1:190
	s_waitcnt lgkmcnt(0)
	s_barrier
	s_and_saveexec_b64 s[0:1], vcc
	s_cbranch_execz .LBB0_30
; %bb.29:
	v_mov_b32_e32 v61, v21
	v_mov_b32_e32 v65, v21
	v_lshl_add_u64 v[22:23], v[60:61], 4, s[8:9]
	s_movk_i32 s0, 0x2000
	v_lshl_add_u64 v[16:17], v[64:65], 4, s[8:9]
	v_add_co_u32_e64 v46, s[0:1], s0, v22
	s_movk_i32 s2, 0x1000
	v_add_co_u32_e32 v16, vcc, 0x1000, v16
	v_addc_co_u32_e64 v47, s[0:1], 0, v23, s[0:1]
	v_add_co_u32_e64 v22, s[0:1], s2, v22
	v_addc_co_u32_e32 v17, vcc, 0, v17, vcc
	s_nop 0
	v_addc_co_u32_e64 v23, s[0:1], 0, v23, s[0:1]
	global_load_dwordx4 v[26:29], v[46:47], off offset:1760
	global_load_dwordx4 v[30:33], v[22:23], off offset:3360
	;; [unrolled: 1-line block ×5, first 2 shown]
	v_mul_lo_u32 v20, s5, v62
	v_mul_lo_u32 v50, s4, v63
	v_mad_u64_u32 v[16:17], s[0:1], s4, v62, 0
	v_add_u32_e32 v51, 0x400, v91
	v_add_u32_e32 v54, 0x1000, v91
	ds_read2_b64 v[46:49], v91 offset0:78 offset1:156
	v_add_u32_e32 v61, 0x800, v91
	ds_read_b64 v[22:23], v91 offset:5616
	ds_read_b64 v[66:67], v90
	v_lshrrev_b32_e32 v68, 1, v60
	s_mov_b32 s0, 0xa80a80a9
	v_add3_u32 v17, v17, v50, v20
	ds_read2_b64 v[50:53], v51 offset0:106 offset1:184
	ds_read2_b64 v[54:57], v54 offset0:34 offset1:112
	;; [unrolled: 1-line block ×3, first 2 shown]
	v_mul_hi_u32 v20, v68, s0
	v_lshrrev_b32_e32 v20, 7, v20
	v_lshl_add_u64 v[16:17], v[16:17], 4, s[6:7]
	v_mul_u32_u24_e32 v20, 0x186, v20
	v_lshl_add_u64 v[58:59], v[58:59], 4, v[16:17]
	v_sub_u32_e32 v16, v60, v20
	v_lshlrev_b32_e32 v20, 4, v16
	v_lshl_add_u64 v[68:69], v[58:59], 0, v[20:21]
	s_movk_i32 s1, 0x30c
	s_waitcnt vmcnt(4)
	v_mul_f64 v[16:17], v[10:11], v[28:29]
	s_waitcnt lgkmcnt(1)
	v_mul_f64 v[28:29], v[56:57], v[28:29]
	s_waitcnt vmcnt(3)
	v_mul_f64 v[70:71], v[14:15], v[32:33]
	s_waitcnt lgkmcnt(0)
	v_mul_f64 v[32:33], v[64:65], v[32:33]
	s_waitcnt vmcnt(2)
	v_mul_f64 v[72:73], v[12:13], v[36:37]
	v_mul_f64 v[36:37], v[62:63], v[36:37]
	s_waitcnt vmcnt(1)
	v_mul_f64 v[74:75], v[24:25], v[40:41]
	v_mul_f64 v[40:41], v[22:23], v[40:41]
	v_fma_f64 v[16:17], v[56:57], v[26:27], -v[16:17]
	v_fmac_f64_e32 v[28:29], v[10:11], v[26:27]
	s_waitcnt vmcnt(0)
	v_mul_f64 v[26:27], v[8:9], v[44:45]
	v_fmac_f64_e32 v[32:33], v[14:15], v[30:31]
	v_fma_f64 v[56:57], v[64:65], v[30:31], -v[70:71]
	v_fma_f64 v[30:31], v[62:63], v[34:35], -v[72:73]
	v_fmac_f64_e32 v[36:37], v[12:13], v[34:35]
	v_fma_f64 v[34:35], v[22:23], v[38:39], -v[74:75]
	v_fmac_f64_e32 v[40:41], v[24:25], v[38:39]
	v_fma_f64 v[38:39], v[54:55], v[42:43], -v[26:27]
	v_add_f64 v[14:15], v[0:1], -v[32:33]
	v_add_f64 v[22:23], v[18:19], -v[36:37]
	;; [unrolled: 1-line block ×3, first 2 shown]
	v_fma_f64 v[38:39], v[0:1], 2.0, -v[14:15]
	v_add_co_u32_e32 v0, vcc, s2, v68
	v_add_f64 v[24:25], v[66:67], -v[30:31]
	s_nop 0
	v_addc_co_u32_e32 v1, vcc, 0, v69, vcc
	global_store_dwordx4 v[0:1], v[22:25], off offset:2144
	v_add_u32_e32 v0, 0x4e, v60
	v_lshrrev_b32_e32 v1, 1, v0
	v_mul_hi_u32 v1, v1, s0
	v_mul_f64 v[44:45], v[54:55], v[44:45]
	v_lshrrev_b32_e32 v1, 7, v1
	v_fmac_f64_e32 v[44:45], v[8:9], v[42:43]
	v_fma_f64 v[42:43], v[18:19], 2.0, -v[22:23]
	v_mul_u32_u24_e32 v18, 0x186, v1
	v_sub_u32_e32 v0, v0, v18
	v_add_f64 v[12:13], v[50:51], -v[16:17]
	v_add_f64 v[16:17], v[46:47], -v[56:57]
	v_mad_u32_u24 v20, v1, s1, v0
	v_add_f64 v[10:11], v[4:5], -v[28:29]
	v_add_f64 v[28:29], v[52:53], -v[34:35]
	;; [unrolled: 1-line block ×4, first 2 shown]
	v_fma_f64 v[40:41], v[46:47], 2.0, -v[16:17]
	v_fma_f64 v[44:45], v[66:67], 2.0, -v[24:25]
	v_lshl_add_u64 v[0:1], v[20:21], 4, v[58:59]
	v_add_u32_e32 v20, 0x186, v20
	global_store_dwordx4 v[68:69], v[42:45], off
	global_store_dwordx4 v[0:1], v[38:41], off
	v_lshl_add_u64 v[0:1], v[20:21], 4, v[58:59]
	global_store_dwordx4 v[0:1], v[14:17], off
	v_add_u32_e32 v0, 0x9c, v60
	v_lshrrev_b32_e32 v1, 1, v0
	v_mul_hi_u32 v1, v1, s0
	v_lshrrev_b32_e32 v1, 7, v1
	v_mul_u32_u24_e32 v14, 0x186, v1
	v_sub_u32_e32 v0, v0, v14
	v_mad_u32_u24 v20, v1, s1, v0
	v_fma_f64 v[30:31], v[4:5], 2.0, -v[10:11]
	v_fma_f64 v[4:5], v[48:49], 2.0, -v[36:37]
	;; [unrolled: 1-line block ×3, first 2 shown]
	v_lshl_add_u64 v[0:1], v[20:21], 4, v[58:59]
	v_add_u32_e32 v20, 0x186, v20
	global_store_dwordx4 v[0:1], v[2:5], off
	v_lshl_add_u64 v[0:1], v[20:21], 4, v[58:59]
	global_store_dwordx4 v[0:1], v[34:37], off
	v_add_u32_e32 v0, 0xea, v60
	v_lshrrev_b32_e32 v1, 1, v0
	v_mul_hi_u32 v1, v1, s0
	v_lshrrev_b32_e32 v1, 7, v1
	v_mul_u32_u24_e32 v2, 0x186, v1
	v_sub_u32_e32 v0, v0, v2
	v_mad_u32_u24 v20, v1, s1, v0
	v_fma_f64 v[32:33], v[50:51], 2.0, -v[12:13]
	v_lshl_add_u64 v[0:1], v[20:21], 4, v[58:59]
	v_add_u32_e32 v20, 0x186, v20
	global_store_dwordx4 v[0:1], v[30:33], off
	v_lshl_add_u64 v[0:1], v[20:21], 4, v[58:59]
	global_store_dwordx4 v[0:1], v[10:13], off
	v_add_u32_e32 v0, 0x138, v60
	v_lshrrev_b32_e32 v1, 1, v0
	v_mul_hi_u32 v1, v1, s0
	v_lshrrev_b32_e32 v1, 7, v1
	v_mul_u32_u24_e32 v2, 0x186, v1
	v_sub_u32_e32 v0, v0, v2
	v_mad_u32_u24 v20, v1, s1, v0
	v_fma_f64 v[8:9], v[52:53], 2.0, -v[28:29]
	v_fma_f64 v[6:7], v[6:7], 2.0, -v[26:27]
	v_lshl_add_u64 v[0:1], v[20:21], 4, v[58:59]
	v_add_u32_e32 v20, 0x186, v20
	global_store_dwordx4 v[0:1], v[6:9], off
	v_lshl_add_u64 v[0:1], v[20:21], 4, v[58:59]
	global_store_dwordx4 v[0:1], v[26:29], off
.LBB0_30:
	s_endpgm
	.section	.rodata,"a",@progbits
	.p2align	6, 0x0
	.amdhsa_kernel fft_rtc_back_len780_factors_2_3_13_5_2_wgs_234_tpt_78_halfLds_dp_op_CI_CI_unitstride_sbrr_dirReg
		.amdhsa_group_segment_fixed_size 0
		.amdhsa_private_segment_fixed_size 0
		.amdhsa_kernarg_size 104
		.amdhsa_user_sgpr_count 2
		.amdhsa_user_sgpr_dispatch_ptr 0
		.amdhsa_user_sgpr_queue_ptr 0
		.amdhsa_user_sgpr_kernarg_segment_ptr 1
		.amdhsa_user_sgpr_dispatch_id 0
		.amdhsa_user_sgpr_kernarg_preload_length 0
		.amdhsa_user_sgpr_kernarg_preload_offset 0
		.amdhsa_user_sgpr_private_segment_size 0
		.amdhsa_uses_dynamic_stack 0
		.amdhsa_enable_private_segment 0
		.amdhsa_system_sgpr_workgroup_id_x 1
		.amdhsa_system_sgpr_workgroup_id_y 0
		.amdhsa_system_sgpr_workgroup_id_z 0
		.amdhsa_system_sgpr_workgroup_info 0
		.amdhsa_system_vgpr_workitem_id 0
		.amdhsa_next_free_vgpr 130
		.amdhsa_next_free_sgpr 46
		.amdhsa_accum_offset 132
		.amdhsa_reserve_vcc 1
		.amdhsa_float_round_mode_32 0
		.amdhsa_float_round_mode_16_64 0
		.amdhsa_float_denorm_mode_32 3
		.amdhsa_float_denorm_mode_16_64 3
		.amdhsa_dx10_clamp 1
		.amdhsa_ieee_mode 1
		.amdhsa_fp16_overflow 0
		.amdhsa_tg_split 0
		.amdhsa_exception_fp_ieee_invalid_op 0
		.amdhsa_exception_fp_denorm_src 0
		.amdhsa_exception_fp_ieee_div_zero 0
		.amdhsa_exception_fp_ieee_overflow 0
		.amdhsa_exception_fp_ieee_underflow 0
		.amdhsa_exception_fp_ieee_inexact 0
		.amdhsa_exception_int_div_zero 0
	.end_amdhsa_kernel
	.text
.Lfunc_end0:
	.size	fft_rtc_back_len780_factors_2_3_13_5_2_wgs_234_tpt_78_halfLds_dp_op_CI_CI_unitstride_sbrr_dirReg, .Lfunc_end0-fft_rtc_back_len780_factors_2_3_13_5_2_wgs_234_tpt_78_halfLds_dp_op_CI_CI_unitstride_sbrr_dirReg
                                        ; -- End function
	.section	.AMDGPU.csdata,"",@progbits
; Kernel info:
; codeLenInByte = 9904
; NumSgprs: 52
; NumVgprs: 130
; NumAgprs: 0
; TotalNumVgprs: 130
; ScratchSize: 0
; MemoryBound: 1
; FloatMode: 240
; IeeeMode: 1
; LDSByteSize: 0 bytes/workgroup (compile time only)
; SGPRBlocks: 6
; VGPRBlocks: 16
; NumSGPRsForWavesPerEU: 52
; NumVGPRsForWavesPerEU: 130
; AccumOffset: 132
; Occupancy: 3
; WaveLimiterHint : 1
; COMPUTE_PGM_RSRC2:SCRATCH_EN: 0
; COMPUTE_PGM_RSRC2:USER_SGPR: 2
; COMPUTE_PGM_RSRC2:TRAP_HANDLER: 0
; COMPUTE_PGM_RSRC2:TGID_X_EN: 1
; COMPUTE_PGM_RSRC2:TGID_Y_EN: 0
; COMPUTE_PGM_RSRC2:TGID_Z_EN: 0
; COMPUTE_PGM_RSRC2:TIDIG_COMP_CNT: 0
; COMPUTE_PGM_RSRC3_GFX90A:ACCUM_OFFSET: 32
; COMPUTE_PGM_RSRC3_GFX90A:TG_SPLIT: 0
	.text
	.p2alignl 6, 3212836864
	.fill 256, 4, 3212836864
	.type	__hip_cuid_d9df6214ebbf43cc,@object ; @__hip_cuid_d9df6214ebbf43cc
	.section	.bss,"aw",@nobits
	.globl	__hip_cuid_d9df6214ebbf43cc
__hip_cuid_d9df6214ebbf43cc:
	.byte	0                               ; 0x0
	.size	__hip_cuid_d9df6214ebbf43cc, 1

	.ident	"AMD clang version 19.0.0git (https://github.com/RadeonOpenCompute/llvm-project roc-6.4.0 25133 c7fe45cf4b819c5991fe208aaa96edf142730f1d)"
	.section	".note.GNU-stack","",@progbits
	.addrsig
	.addrsig_sym __hip_cuid_d9df6214ebbf43cc
	.amdgpu_metadata
---
amdhsa.kernels:
  - .agpr_count:     0
    .args:
      - .actual_access:  read_only
        .address_space:  global
        .offset:         0
        .size:           8
        .value_kind:     global_buffer
      - .offset:         8
        .size:           8
        .value_kind:     by_value
      - .actual_access:  read_only
        .address_space:  global
        .offset:         16
        .size:           8
        .value_kind:     global_buffer
      - .actual_access:  read_only
        .address_space:  global
        .offset:         24
        .size:           8
        .value_kind:     global_buffer
      - .actual_access:  read_only
        .address_space:  global
        .offset:         32
        .size:           8
        .value_kind:     global_buffer
      - .offset:         40
        .size:           8
        .value_kind:     by_value
      - .actual_access:  read_only
        .address_space:  global
        .offset:         48
        .size:           8
        .value_kind:     global_buffer
      - .actual_access:  read_only
        .address_space:  global
        .offset:         56
        .size:           8
        .value_kind:     global_buffer
      - .offset:         64
        .size:           4
        .value_kind:     by_value
      - .actual_access:  read_only
        .address_space:  global
        .offset:         72
        .size:           8
        .value_kind:     global_buffer
      - .actual_access:  read_only
        .address_space:  global
        .offset:         80
        .size:           8
        .value_kind:     global_buffer
      - .actual_access:  read_only
        .address_space:  global
        .offset:         88
        .size:           8
        .value_kind:     global_buffer
      - .actual_access:  write_only
        .address_space:  global
        .offset:         96
        .size:           8
        .value_kind:     global_buffer
    .group_segment_fixed_size: 0
    .kernarg_segment_align: 8
    .kernarg_segment_size: 104
    .language:       OpenCL C
    .language_version:
      - 2
      - 0
    .max_flat_workgroup_size: 234
    .name:           fft_rtc_back_len780_factors_2_3_13_5_2_wgs_234_tpt_78_halfLds_dp_op_CI_CI_unitstride_sbrr_dirReg
    .private_segment_fixed_size: 0
    .sgpr_count:     52
    .sgpr_spill_count: 0
    .symbol:         fft_rtc_back_len780_factors_2_3_13_5_2_wgs_234_tpt_78_halfLds_dp_op_CI_CI_unitstride_sbrr_dirReg.kd
    .uniform_work_group_size: 1
    .uses_dynamic_stack: false
    .vgpr_count:     130
    .vgpr_spill_count: 0
    .wavefront_size: 64
amdhsa.target:   amdgcn-amd-amdhsa--gfx950
amdhsa.version:
  - 1
  - 2
...

	.end_amdgpu_metadata
